;; amdgpu-corpus repo=ROCm/rocFFT kind=compiled arch=gfx950 opt=O3
	.text
	.amdgcn_target "amdgcn-amd-amdhsa--gfx950"
	.amdhsa_code_object_version 6
	.protected	bluestein_single_fwd_len735_dim1_sp_op_CI_CI ; -- Begin function bluestein_single_fwd_len735_dim1_sp_op_CI_CI
	.globl	bluestein_single_fwd_len735_dim1_sp_op_CI_CI
	.p2align	8
	.type	bluestein_single_fwd_len735_dim1_sp_op_CI_CI,@function
bluestein_single_fwd_len735_dim1_sp_op_CI_CI: ; @bluestein_single_fwd_len735_dim1_sp_op_CI_CI
; %bb.0:
	s_load_dwordx4 s[4:7], s[0:1], 0x28
	v_mul_u32_u24_e32 v1, 0x1be, v0
	v_add_u32_sdwa v42, s2, v1 dst_sel:DWORD dst_unused:UNUSED_PAD src0_sel:DWORD src1_sel:WORD_1
	v_mov_b32_e32 v43, 0
	s_waitcnt lgkmcnt(0)
	v_cmp_gt_u64_e32 vcc, s[4:5], v[42:43]
	s_and_saveexec_b64 s[2:3], vcc
	s_cbranch_execz .LBB0_31
; %bb.1:
	s_load_dwordx2 s[10:11], s[0:1], 0x0
	s_load_dwordx2 s[16:17], s[0:1], 0x38
	s_movk_i32 s2, 0x93
	v_mul_lo_u16_sdwa v1, v1, s2 dst_sel:DWORD dst_unused:UNUSED_PAD src0_sel:WORD_1 src1_sel:DWORD
	v_sub_u16_e32 v43, v0, v1
	s_movk_i32 s2, 0x68
	v_cmp_lt_u16_e64 s[4:5], s2, v43
	s_movk_i32 s2, 0x69
	v_cmp_gt_u16_e64 s[8:9], s2, v43
	v_lshlrev_b32_e32 v40, 3, v43
	s_and_saveexec_b64 s[2:3], s[8:9]
	s_cbranch_execz .LBB0_3
; %bb.2:
	s_load_dwordx2 s[12:13], s[0:1], 0x18
	v_mov_b32_e32 v0, s6
	v_mov_b32_e32 v1, s7
	;; [unrolled: 1-line block ×4, first 2 shown]
	s_waitcnt lgkmcnt(0)
	s_load_dwordx4 s[12:15], s[12:13], 0x0
	s_waitcnt lgkmcnt(0)
	v_mad_u64_u32 v[2:3], s[6:7], s14, v42, 0
	v_mad_u64_u32 v[4:5], s[6:7], s12, v43, 0
	v_mov_b32_e32 v6, v3
	v_mov_b32_e32 v8, v5
	v_mad_u64_u32 v[6:7], s[6:7], s15, v42, v[6:7]
	v_mov_b32_e32 v3, v6
	v_mad_u64_u32 v[6:7], s[6:7], s13, v43, v[8:9]
	v_mov_b32_e32 v5, v6
	v_lshl_add_u64 v[0:1], v[2:3], 3, v[0:1]
	v_lshl_add_u64 v[0:1], v[4:5], 3, v[0:1]
	global_load_dwordx2 v[2:3], v[0:1], off
	v_mad_u64_u32 v[0:1], s[6:7], s12, v28, v[0:1]
	s_mulk_i32 s13, 0x348
	v_add_u32_e32 v1, s13, v1
	v_mad_u64_u32 v[10:11], s[6:7], s12, v28, v[0:1]
	v_add_u32_e32 v11, s13, v11
	v_mad_u64_u32 v[14:15], s[6:7], s12, v28, v[10:11]
	;; [unrolled: 2-line block ×3, first 2 shown]
	v_add_u32_e32 v17, s13, v17
	global_load_dwordx2 v[6:7], v40, s[10:11]
	global_load_dwordx2 v[8:9], v40, s[10:11] offset:840
	global_load_dwordx2 v[12:13], v40, s[10:11] offset:1680
	v_lshl_add_u64 v[4:5], s[10:11], 0, v[40:41]
	global_load_dwordx2 v[0:1], v[0:1], off
	s_nop 0
	global_load_dwordx2 v[18:19], v[10:11], off
	global_load_dwordx2 v[20:21], v[14:15], off
	;; [unrolled: 1-line block ×3, first 2 shown]
	global_load_dwordx2 v[24:25], v40, s[10:11] offset:2520
	global_load_dwordx2 v[26:27], v40, s[10:11] offset:3360
	v_mad_u64_u32 v[10:11], s[6:7], s12, v28, v[16:17]
	s_movk_i32 s6, 0x1000
	s_nop 0
	v_add_co_u32_e32 v4, vcc, s6, v4
	v_add_u32_e32 v11, s13, v11
	s_nop 0
	v_addc_co_u32_e32 v5, vcc, 0, v5, vcc
	global_load_dwordx2 v[14:15], v[10:11], off
	global_load_dwordx2 v[16:17], v[4:5], off offset:104
	v_mad_u64_u32 v[10:11], s[6:7], s12, v28, v[10:11]
	v_add_u32_e32 v11, s13, v11
	global_load_dwordx2 v[28:29], v[4:5], off offset:944
	global_load_dwordx2 v[30:31], v[10:11], off
	v_add_u32_e32 v10, 0x400, v40
	v_add_u32_e32 v11, 0xc00, v40
	s_waitcnt vmcnt(12)
	v_mul_f32_e32 v4, v3, v7
	v_mul_f32_e32 v5, v2, v7
	v_fmac_f32_e32 v4, v2, v6
	v_fma_f32 v5, v3, v6, -v5
	s_waitcnt vmcnt(9)
	v_mul_f32_e32 v2, v1, v9
	v_mul_f32_e32 v3, v0, v9
	v_fmac_f32_e32 v2, v0, v8
	v_fma_f32 v3, v1, v8, -v3
	ds_write2_b64 v40, v[4:5], v[2:3] offset1:105
	s_waitcnt vmcnt(8)
	v_mul_f32_e32 v0, v19, v13
	v_mul_f32_e32 v1, v18, v13
	s_waitcnt vmcnt(5)
	v_mul_f32_e32 v2, v21, v25
	v_mul_f32_e32 v3, v20, v25
	v_fmac_f32_e32 v0, v18, v12
	v_fma_f32 v1, v19, v12, -v1
	v_fmac_f32_e32 v2, v20, v24
	v_fma_f32 v3, v21, v24, -v3
	ds_write2_b64 v10, v[0:1], v[2:3] offset0:82 offset1:187
	s_waitcnt vmcnt(4)
	v_mul_f32_e32 v0, v23, v27
	v_mul_f32_e32 v1, v22, v27
	s_waitcnt vmcnt(2)
	v_mul_f32_e32 v2, v15, v17
	v_mul_f32_e32 v3, v14, v17
	v_fmac_f32_e32 v0, v22, v26
	v_fma_f32 v1, v23, v26, -v1
	v_fmac_f32_e32 v2, v14, v16
	v_fma_f32 v3, v15, v16, -v3
	ds_write2_b64 v11, v[0:1], v[2:3] offset0:36 offset1:141
	s_waitcnt vmcnt(0)
	v_mul_f32_e32 v0, v31, v29
	v_mul_f32_e32 v1, v30, v29
	v_fmac_f32_e32 v0, v30, v28
	v_fma_f32 v1, v31, v28, -v1
	ds_write_b64 v40, v[0:1] offset:5040
.LBB0_3:
	s_or_b64 exec, exec, s[2:3]
	v_mov_b64_e32 v[2:3], 0
	v_mov_b64_e32 v[4:5], v[2:3]
	;; [unrolled: 1-line block ×4, first 2 shown]
	s_waitcnt lgkmcnt(0)
	s_barrier
	s_waitcnt lgkmcnt(0)
                                        ; implicit-def: $vgpr12
	s_and_saveexec_b64 s[2:3], s[8:9]
	s_cbranch_execz .LBB0_5
; %bb.4:
	v_add_u32_e32 v4, 0x400, v40
	v_add_u32_e32 v8, 0xc00, v40
	ds_read2_b64 v[0:3], v40 offset1:105
	ds_read2_b64 v[4:7], v4 offset0:82 offset1:187
	ds_read2_b64 v[8:11], v8 offset0:36 offset1:141
	ds_read_b64 v[12:13], v40 offset:5040
.LBB0_5:
	s_or_b64 exec, exec, s[2:3]
	s_waitcnt lgkmcnt(0)
	v_pk_add_f32 v[14:15], v[12:13], v[2:3]
	v_pk_add_f32 v[2:3], v[2:3], v[12:13] neg_lo:[0,1] neg_hi:[0,1]
	v_pk_add_f32 v[12:13], v[10:11], v[4:5]
	v_pk_add_f32 v[4:5], v[4:5], v[10:11] neg_lo:[0,1] neg_hi:[0,1]
	;; [unrolled: 2-line block ×5, first 2 shown]
	v_pk_add_f32 v[20:21], v[6:7], v[4:5] op_sel:[1,1] op_sel_hi:[0,0] neg_lo:[0,1] neg_hi:[0,1]
	v_pk_add_f32 v[0:1], v[8:9], v[0:1]
	s_mov_b32 s2, 0xbf955555
	s_mov_b32 s6, 0x3d64c772
	;; [unrolled: 1-line block ×3, first 2 shown]
	v_pk_add_f32 v[18:19], v[4:5], v[6:7] op_sel:[1,1] op_sel_hi:[0,0]
	v_pk_add_f32 v[4:5], v[4:5], v[2:3] op_sel:[1,1] op_sel_hi:[0,0] neg_lo:[0,1] neg_hi:[0,1]
	v_pk_mul_f32 v[12:13], v[12:13], s[6:7] op_sel_hi:[1,0]
	s_mov_b32 s6, 0x3f3bfb3b
	v_pk_mul_f32 v[20:21], v[20:21], s[14:15] op_sel_hi:[1,0]
	s_mov_b32 s14, 0x3f5ff5aa
	v_pk_fma_f32 v[8:9], v[8:9], s[2:3], v[0:1] op_sel_hi:[1,0,1]
	v_pk_add_f32 v[10:11], v[14:15], v[10:11] neg_lo:[0,1] neg_hi:[0,1]
	s_mov_b32 s2, 0x3f4a47b2
	v_pk_add_f32 v[18:19], v[2:3], v[18:19] op_sel:[1,0] op_sel_hi:[0,1]
	s_mov_b32 s12, 0x3ee1c552
	v_pk_mul_f32 v[22:23], v[4:5], s[14:15] op_sel_hi:[1,0]
	v_pk_fma_f32 v[24:25], v[16:17], s[6:7], v[12:13] op_sel_hi:[1,0,1] neg_lo:[0,0,1] neg_hi:[0,0,1]
	v_pk_fma_f32 v[4:5], v[4:5], s[14:15], v[20:21] op_sel_hi:[1,0,1] neg_lo:[0,0,1] neg_hi:[0,0,1]
	v_pk_add_f32 v[2:3], v[2:3], v[6:7] op_sel:[1,1] op_sel_hi:[0,0] neg_lo:[0,1] neg_hi:[0,1]
	v_pk_mul_f32 v[6:7], v[10:11], s[2:3] op_sel_hi:[1,0]
	s_mov_b32 s14, 0x3eae86e6
	v_pk_add_f32 v[24:25], v[24:25], v[8:9]
	v_pk_fma_f32 v[10:11], v[10:11], s[2:3], v[12:13] op_sel_hi:[1,0,1]
	v_pk_fma_f32 v[12:13], v[2:3], s[14:15], v[20:21] op_sel_hi:[1,0,1]
	;; [unrolled: 1-line block ×3, first 2 shown]
	v_pk_fma_f32 v[4:5], v[16:17], s[6:7], v[6:7] op_sel_hi:[1,0,1] neg_lo:[1,0,1] neg_hi:[1,0,1]
	v_pk_fma_f32 v[6:7], v[2:3], s[14:15], v[22:23] op_sel_hi:[1,0,1] neg_lo:[1,0,1] neg_hi:[1,0,1]
	v_pk_fma_f32 v[20:21], v[18:19], s[12:13], v[12:13] op_sel_hi:[1,0,1]
	v_pk_add_f32 v[2:3], v[4:5], v[8:9]
	v_pk_fma_f32 v[4:5], v[18:19], s[12:13], v[6:7] op_sel_hi:[1,0,1]
	v_pk_add_f32 v[6:7], v[24:25], v[26:27]
	v_pk_add_f32 v[12:13], v[24:25], v[26:27] neg_lo:[0,1] neg_hi:[0,1]
	v_pk_add_f32 v[10:11], v[10:11], v[8:9]
	v_mov_b32_e32 v13, v7
	v_mov_b32_e32 v6, v25
	;; [unrolled: 1-line block ×5, first 2 shown]
	v_pk_add_f32 v[14:15], v[6:7], v[8:9] neg_lo:[0,1] neg_hi:[0,1]
	v_mov_b32_e32 v6, v5
	v_mov_b32_e32 v7, v24
	;; [unrolled: 1-line block ×4, first 2 shown]
	v_pk_add_f32 v[16:17], v[6:7], v[8:9]
	v_pk_add_f32 v[6:7], v[10:11], v[20:21]
	v_pk_add_f32 v[8:9], v[10:11], v[20:21] neg_lo:[0,1] neg_hi:[0,1]
	v_mov_b32_e32 v31, v7
	v_mov_b32_e32 v30, v8
	v_mul_lo_u16_e32 v52, 7, v43
	s_barrier
	s_and_saveexec_b64 s[2:3], s[8:9]
	s_cbranch_execz .LBB0_7
; %bb.6:
	v_pk_add_f32 v[10:11], v[2:3], v[4:5]
	v_pk_add_f32 v[2:3], v[2:3], v[4:5] neg_lo:[0,1] neg_hi:[0,1]
	v_lshlrev_b32_e32 v4, 3, v52
	v_mov_b32_e32 v7, v9
	ds_write2_b64 v4, v[0:1], v[6:7] offset1:1
	v_mov_b32_e32 v11, v3
	v_mov_b32_e32 v0, v17
	;; [unrolled: 1-line block ×5, first 2 shown]
	ds_write2_b64 v4, v[10:11], v[12:13] offset0:2 offset1:3
	ds_write2_b64 v4, v[0:1], v[2:3] offset0:4 offset1:5
	ds_write_b64 v4, v[30:31] offset:48
.LBB0_7:
	s_or_b64 exec, exec, s[2:3]
	s_load_dwordx2 s[12:13], s[0:1], 0x20
	s_load_dwordx2 s[18:19], s[0:1], 0x8
	s_waitcnt lgkmcnt(0)
	s_barrier
	ds_read2_b64 v[8:11], v40 offset1:245
	ds_read_b64 v[18:19], v40 offset:3920
	s_movk_i32 s0, 0x62
	v_cmp_gt_u16_e64 s[2:3], s0, v43
	s_movk_i32 s0, 0x61
	v_cmp_lt_u16_e64 s[6:7], s0, v43
	s_and_saveexec_b64 s[0:1], s[6:7]
	s_xor_b64 s[0:1], exec, s[0:1]
	s_andn2_saveexec_b64 s[0:1], s[0:1]
	s_cbranch_execz .LBB0_9
; %bb.8:
	v_add_u32_e32 v0, 0x480, v40
	ds_read_b64 v[4:5], v40 offset:5096
	ds_read2_b64 v[0:3], v0 offset0:3 offset1:248
	s_waitcnt lgkmcnt(1)
	v_mov_b32_e32 v16, v5
	v_mov_b32_e32 v15, v4
	s_waitcnt lgkmcnt(0)
	v_mov_b32_e32 v17, v2
	v_mov_b32_e32 v14, v3
	;; [unrolled: 1-line block ×4, first 2 shown]
.LBB0_9:
	s_or_b64 exec, exec, s[0:1]
	v_mov_b32_e32 v0, 37
	v_mul_lo_u16_sdwa v0, v43, v0 dst_sel:DWORD dst_unused:UNUSED_PAD src0_sel:BYTE_0 src1_sel:DWORD
	v_sub_u16_sdwa v1, v43, v0 dst_sel:DWORD dst_unused:UNUSED_PAD src0_sel:DWORD src1_sel:BYTE_1
	v_lshrrev_b16_e32 v1, 1, v1
	v_and_b32_e32 v1, 0x7f, v1
	v_add_u16_sdwa v0, v1, v0 dst_sel:DWORD dst_unused:UNUSED_PAD src0_sel:DWORD src1_sel:BYTE_1
	v_lshrrev_b16_e32 v20, 2, v0
	v_mul_lo_u16_e32 v0, 7, v20
	v_sub_u16_e32 v0, v43, v0
	v_and_b32_e32 v21, 0xff, v0
	v_add_u16_e32 v0, 0x93, v43
	v_mul_u32_u24_e32 v1, 0x2493, v0
	v_sub_u16_sdwa v2, v0, v1 dst_sel:DWORD dst_unused:UNUSED_PAD src0_sel:DWORD src1_sel:WORD_1
	v_lshrrev_b16_e32 v2, 1, v2
	v_add_u16_sdwa v1, v2, v1 dst_sel:DWORD dst_unused:UNUSED_PAD src0_sel:DWORD src1_sel:WORD_1
	v_lshrrev_b16_e32 v32, 2, v1
	v_mul_lo_u16_e32 v1, 7, v32
	v_sub_u16_e32 v33, v0, v1
	v_lshlrev_b16_e32 v0, 1, v33
	v_lshlrev_b32_e32 v0, 3, v0
	v_lshlrev_b32_e32 v4, 4, v21
	global_load_dwordx4 v[0:3], v0, s[18:19]
	v_mul_u32_u24_e32 v20, 21, v20
	global_load_dwordx4 v[4:7], v4, s[18:19]
	v_add_lshl_u32 v60, v20, v21, 3
	s_load_dwordx4 s[12:15], s[12:13], 0x0
	s_mov_b32 s0, 0x3f5db3d7
	v_mad_legacy_u16 v61, v32, 21, v33
	s_waitcnt lgkmcnt(0)
	s_barrier
	s_waitcnt vmcnt(1)
	v_pk_mul_f32 v[20:21], v[14:15], v[0:1] op_sel_hi:[0,1]
	v_pk_mul_f32 v[22:23], v[16:17], v[2:3] op_sel_hi:[0,1]
	s_waitcnt vmcnt(0)
	v_pk_mul_f32 v[24:25], v[10:11], v[4:5] op_sel:[0,1]
	v_mov_b32_e32 v26, v7
	v_pk_fma_f32 v[28:29], v[16:17], v[0:1], v[20:21] op_sel:[0,0,1] op_sel_hi:[1,1,0]
	v_pk_fma_f32 v[16:17], v[16:17], v[0:1], v[20:21] op_sel:[1,0,1] op_sel_hi:[1,1,0] neg_lo:[0,0,1] neg_hi:[0,0,1]
	v_pk_fma_f32 v[20:21], v[14:15], v[2:3], v[22:23] op_sel:[0,0,1] op_sel_hi:[1,1,0]
	v_pk_fma_f32 v[14:15], v[14:15], v[2:3], v[22:23] op_sel:[1,0,1] op_sel_hi:[1,1,0] neg_lo:[0,0,1] neg_hi:[0,0,1]
	v_pk_fma_f32 v[22:23], v[10:11], v[4:5], v[24:25] op_sel:[0,0,1] op_sel_hi:[1,1,0] neg_lo:[0,0,1] neg_hi:[0,0,1]
	v_pk_fma_f32 v[10:11], v[10:11], v[4:5], v[24:25] op_sel:[0,0,1] op_sel_hi:[1,0,0]
	v_pk_mul_f32 v[24:25], v[18:19], v[26:27] op_sel_hi:[1,0]
	v_mov_b32_e32 v17, v29
	v_mov_b32_e32 v15, v21
	;; [unrolled: 1-line block ×3, first 2 shown]
	v_pk_fma_f32 v[10:11], v[18:19], v[6:7], v[24:25] op_sel:[0,0,1] op_sel_hi:[1,1,0] neg_lo:[0,0,1] neg_hi:[0,0,1]
	v_pk_fma_f32 v[18:19], v[18:19], v[6:7], v[24:25] op_sel:[0,0,1] op_sel_hi:[1,0,0]
	v_pk_add_f32 v[20:21], v[16:17], v[14:15]
	v_pk_add_f32 v[24:25], v[16:17], v[14:15] neg_lo:[0,1] neg_hi:[0,1]
	v_mov_b32_e32 v11, v19
	v_pk_add_f32 v[18:19], v[8:9], v[22:23]
	v_pk_fma_f32 v[20:21], v[20:21], 0.5, v[12:13] op_sel_hi:[1,0,1] neg_lo:[1,0,0] neg_hi:[1,0,0]
	v_pk_mul_f32 v[24:25], v[24:25], s[0:1] op_sel_hi:[1,0]
	v_pk_add_f32 v[28:29], v[22:23], v[10:11]
	v_pk_add_f32 v[22:23], v[22:23], v[10:11] neg_lo:[0,1] neg_hi:[0,1]
	v_pk_add_f32 v[26:27], v[18:19], v[10:11]
	v_pk_add_f32 v[10:11], v[20:21], v[24:25] op_sel:[0,1] op_sel_hi:[1,0]
	v_pk_add_f32 v[18:19], v[20:21], v[24:25] op_sel:[0,1] op_sel_hi:[1,0] neg_lo:[0,1] neg_hi:[0,1]
	v_pk_fma_f32 v[8:9], v[28:29], 0.5, v[8:9] op_sel_hi:[1,0,1] neg_lo:[1,0,0] neg_hi:[1,0,0]
	v_pk_mul_f32 v[20:21], v[22:23], s[0:1] op_sel_hi:[1,0]
	v_mov_b32_e32 v28, v18
	v_pk_add_f32 v[22:23], v[8:9], v[20:21] op_sel:[0,1] op_sel_hi:[1,0]
	v_pk_add_f32 v[8:9], v[8:9], v[20:21] op_sel:[0,1] op_sel_hi:[1,0] neg_lo:[0,1] neg_hi:[0,1]
	v_mov_b32_e32 v29, v11
	v_mov_b32_e32 v20, v22
	v_mov_b32_e32 v21, v9
	v_mov_b32_e32 v9, v23
	ds_write2_b64 v60, v[26:27], v[20:21] offset1:7
	ds_write_b64 v60, v[8:9] offset:112
	s_and_saveexec_b64 s[0:1], s[2:3]
	s_cbranch_execz .LBB0_11
; %bb.10:
	v_pk_add_f32 v[8:9], v[12:13], v[16:17]
	v_lshlrev_b32_e32 v18, 3, v61
	v_pk_add_f32 v[8:9], v[8:9], v[14:15]
	v_mov_b32_e32 v11, v19
	ds_write2_b64 v18, v[8:9], v[10:11] offset1:7
	ds_write_b64 v18, v[28:29] offset:112
.LBB0_11:
	s_or_b64 exec, exec, s[0:1]
	s_movk_i32 s0, 0x87
	v_mul_lo_u16_sdwa v8, v43, s0 dst_sel:DWORD dst_unused:UNUSED_PAD src0_sel:BYTE_0 src1_sel:DWORD
	v_sub_u16_sdwa v9, v43, v8 dst_sel:DWORD dst_unused:UNUSED_PAD src0_sel:DWORD src1_sel:BYTE_1
	v_lshrrev_b16_e32 v9, 1, v9
	v_and_b32_e32 v9, 0x7f, v9
	v_add_u16_sdwa v8, v9, v8 dst_sel:DWORD dst_unused:UNUSED_PAD src0_sel:DWORD src1_sel:BYTE_1
	v_lshrrev_b16_e32 v8, 4, v8
	v_and_b32_e32 v26, 15, v8
	v_mul_lo_u16_e32 v8, 21, v26
	v_sub_u16_e32 v8, v43, v8
	v_and_b32_e32 v27, 0xff, v8
	v_lshlrev_b32_e32 v16, 5, v27
	s_waitcnt lgkmcnt(0)
	s_barrier
	global_load_dwordx4 v[12:15], v16, s[18:19] offset:112
	global_load_dwordx4 v[8:11], v16, s[18:19] offset:128
	v_add_u32_e32 v16, 0x400, v40
	v_add_u32_e32 v20, 0xc00, v40
	ds_read_b64 v[24:25], v40
	ds_read2_b64 v[16:19], v16 offset0:19 offset1:166
	ds_read2_b64 v[20:23], v20 offset0:57 offset1:204
	s_movk_i32 s1, 0x69
	v_mul_u32_u24_sdwa v26, v26, s1 dst_sel:DWORD dst_unused:UNUSED_PAD src0_sel:WORD_0 src1_sel:DWORD
	v_add_lshl_u32 v62, v26, v27, 3
	s_mov_b32 s0, 0x3f737871
	s_mov_b32 s20, 0x3f167918
	;; [unrolled: 1-line block ×3, first 2 shown]
	s_waitcnt lgkmcnt(0)
	s_barrier
	s_waitcnt vmcnt(1)
	v_pk_mul_f32 v[26:27], v[16:17], v[12:13] op_sel:[0,1]
	v_mov_b32_e32 v32, v15
	s_waitcnt vmcnt(0)
	v_pk_mul_f32 v[34:35], v[20:21], v[8:9] op_sel:[0,1]
	v_mov_b32_e32 v36, v11
	v_pk_fma_f32 v[38:39], v[16:17], v[12:13], v[26:27] op_sel:[0,0,1] op_sel_hi:[1,1,0] neg_lo:[0,0,1] neg_hi:[0,0,1]
	v_pk_fma_f32 v[16:17], v[16:17], v[12:13], v[26:27] op_sel:[0,0,1] op_sel_hi:[1,0,0]
	v_pk_mul_f32 v[26:27], v[18:19], v[32:33] op_sel_hi:[1,0]
	v_pk_fma_f32 v[32:33], v[20:21], v[8:9], v[34:35] op_sel:[0,0,1] op_sel_hi:[1,1,0] neg_lo:[0,0,1] neg_hi:[0,0,1]
	v_pk_fma_f32 v[20:21], v[20:21], v[8:9], v[34:35] op_sel:[0,0,1] op_sel_hi:[1,0,0]
	v_pk_mul_f32 v[34:35], v[22:23], v[36:37] op_sel_hi:[1,0]
	v_mov_b32_e32 v39, v17
	v_pk_fma_f32 v[16:17], v[18:19], v[14:15], v[26:27] op_sel:[0,0,1] op_sel_hi:[1,1,0] neg_lo:[0,0,1] neg_hi:[0,0,1]
	v_pk_fma_f32 v[18:19], v[18:19], v[14:15], v[26:27] op_sel:[0,0,1] op_sel_hi:[1,0,0]
	v_mov_b32_e32 v33, v21
	v_pk_fma_f32 v[20:21], v[22:23], v[10:11], v[34:35] op_sel:[0,0,1] op_sel_hi:[1,1,0] neg_lo:[0,0,1] neg_hi:[0,0,1]
	v_pk_fma_f32 v[22:23], v[22:23], v[10:11], v[34:35] op_sel:[0,0,1] op_sel_hi:[1,0,0]
	v_mov_b32_e32 v17, v19
	v_mov_b32_e32 v21, v23
	v_pk_add_f32 v[18:19], v[24:25], v[38:39]
	v_pk_add_f32 v[34:35], v[38:39], v[20:21]
	;; [unrolled: 1-line block ×4, first 2 shown]
	v_pk_add_f32 v[22:23], v[38:39], v[20:21] neg_lo:[0,1] neg_hi:[0,1]
	v_pk_add_f32 v[26:27], v[16:17], v[32:33] neg_lo:[0,1] neg_hi:[0,1]
	v_pk_fma_f32 v[34:35], v[34:35], 0.5, v[24:25] op_sel_hi:[1,0,1] neg_lo:[1,0,0] neg_hi:[1,0,0]
	v_pk_add_f32 v[18:19], v[18:19], v[32:33]
	v_pk_fma_f32 v[24:25], v[46:47], 0.5, v[24:25] op_sel_hi:[1,0,1] neg_lo:[1,0,0] neg_hi:[1,0,0]
	v_pk_add_f32 v[36:37], v[16:17], v[38:39] neg_lo:[0,1] neg_hi:[0,1]
	v_pk_add_f32 v[44:45], v[32:33], v[20:21] neg_lo:[0,1] neg_hi:[0,1]
	;; [unrolled: 1-line block ×4, first 2 shown]
	v_pk_add_f32 v[46:47], v[18:19], v[20:21]
	v_pk_fma_f32 v[18:19], v[22:23], s[0:1], v[24:25] op_sel:[1,0,0] op_sel_hi:[0,0,1]
	v_pk_fma_f32 v[20:21], v[22:23], s[0:1], v[24:25] op_sel:[1,0,0] op_sel_hi:[0,0,1] neg_lo:[1,0,0] neg_hi:[1,0,0]
	v_pk_fma_f32 v[24:25], v[26:27], s[0:1], v[34:35] op_sel:[1,0,0] op_sel_hi:[0,0,1] neg_lo:[1,0,0] neg_hi:[1,0,0]
	v_pk_fma_f32 v[32:33], v[26:27], s[0:1], v[34:35] op_sel:[1,0,0] op_sel_hi:[0,0,1]
	v_pk_fma_f32 v[20:21], v[26:27], s[20:21], v[20:21] op_sel:[1,0,0] op_sel_hi:[0,0,1] neg_lo:[1,0,0] neg_hi:[1,0,0]
	v_pk_fma_f32 v[18:19], v[26:27], s[20:21], v[18:19] op_sel:[1,0,0] op_sel_hi:[0,0,1]
	;; [unrolled: 2-line block ×3, first 2 shown]
	v_pk_add_f32 v[36:37], v[36:37], v[44:45]
	v_pk_add_f32 v[16:17], v[16:17], v[38:39]
	v_mov_b32_e32 v24, v18
	v_mov_b32_e32 v25, v21
	;; [unrolled: 1-line block ×6, first 2 shown]
	v_pk_fma_f32 v[32:33], v[16:17], s[22:23], v[24:25] op_sel_hi:[1,0,1]
	v_pk_fma_f32 v[38:39], v[16:17], s[22:23], v[20:21] op_sel_hi:[1,0,1]
	;; [unrolled: 1-line block ×4, first 2 shown]
	ds_write2_b64 v62, v[46:47], v[32:33] offset1:21
	ds_write2_b64 v62, v[34:35], v[36:37] offset0:42 offset1:63
	ds_write_b64 v62, v[38:39] offset:672
	s_waitcnt lgkmcnt(0)
	s_barrier
	s_and_saveexec_b64 s[0:1], s[8:9]
	s_cbranch_execz .LBB0_13
; %bb.12:
	v_add_u32_e32 v16, 0x800, v40
	ds_read_b64 v[46:47], v40
	ds_read2_b64 v[32:35], v40 offset0:105 offset1:210
	ds_read2_b64 v[36:39], v16 offset0:59 offset1:164
	v_add_u32_e32 v16, 0x1000, v40
	ds_read2_b64 v[28:31], v16 offset0:13 offset1:118
.LBB0_13:
	s_or_b64 exec, exec, s[0:1]
	v_add_u32_e32 v16, 0xffffff97, v43
	v_cndmask_b32_e64 v16, v16, v43, s[8:9]
	v_mul_hi_i32_i24_e32 v17, 48, v16
	v_mul_i32_i24_e32 v16, 48, v16
	v_lshl_add_u64 v[44:45], s[18:19], 0, v[16:17]
	global_load_dwordx4 v[24:27], v[44:45], off offset:800
	global_load_dwordx4 v[16:19], v[44:45], off offset:784
	;; [unrolled: 1-line block ×3, first 2 shown]
	s_waitcnt lgkmcnt(1)
	v_mov_b32_e32 v44, v37
	v_mov_b32_e32 v48, v39
	s_waitcnt lgkmcnt(0)
	v_mov_b32_e32 v50, v29
	v_mov_b32_e32 v54, v35
	;; [unrolled: 1-line block ×3, first 2 shown]
	s_mov_b32 s24, 0x3d64c772
	s_mov_b32 s0, 0xbf08b237
	;; [unrolled: 1-line block ×9, first 2 shown]
	s_waitcnt vmcnt(2)
	v_pk_mul_f32 v[56:57], v[44:45], v[24:25] op_sel:[0,1] op_sel_hi:[1,0]
	s_waitcnt vmcnt(1)
	v_pk_mul_f32 v[64:65], v[32:33], v[16:17]
	v_mov_b32_e32 v44, v27
	v_mov_b32_e32 v45, v26
	v_pk_mul_f32 v[66:67], v[34:35], v[18:19]
	s_waitcnt vmcnt(0)
	v_pk_mul_f32 v[68:69], v[28:29], v[20:21]
	v_mov_b32_e32 v64, v21
	v_mov_b32_e32 v70, v23
	;; [unrolled: 1-line block ×3, first 2 shown]
	v_pk_mul_f32 v[72:73], v[30:31], v[22:23]
	v_pk_mul_f32 v[50:51], v[50:51], v[20:21]
	v_pk_mul_f32 v[48:49], v[48:49], v[44:45]
	v_mov_b32_e32 v66, v65
	v_mov_b32_e32 v68, v67
	;; [unrolled: 1-line block ×3, first 2 shown]
	v_pk_mul_f32 v[64:65], v[28:29], v[64:65]
	v_mov_b32_e32 v78, v73
	v_pk_mul_f32 v[70:71], v[30:31], v[70:71]
	v_pk_mul_f32 v[58:59], v[36:37], v[24:25] op_sel:[0,1] op_sel_hi:[1,0]
	v_mov_b32_e32 v76, v19
	v_mov_b32_e32 v77, v17
	v_pk_fma_f32 v[36:37], v[36:37], v[24:25], v[56:57] neg_lo:[0,0,1] neg_hi:[0,0,1]
	v_pk_mul_f32 v[56:57], v[38:39], v[44:45]
	v_pk_fma_f32 v[38:39], v[38:39], v[26:27], v[48:49] neg_lo:[0,0,1] neg_hi:[0,0,1]
	v_pk_fma_f32 v[48:49], v[32:33], v[16:17], v[66:67] neg_lo:[0,0,1] neg_hi:[0,0,1]
	;; [unrolled: 1-line block ×5, first 2 shown]
	v_mov_b32_e32 v35, v32
	v_mov_b32_e32 v51, v71
	;; [unrolled: 1-line block ×5, first 2 shown]
	v_pk_add_f32 v[32:33], v[48:49], v[30:31] neg_lo:[0,1] neg_hi:[0,1]
	v_pk_mul_f32 v[34:35], v[34:35], v[76:77]
	v_pk_add_f32 v[50:51], v[50:51], v[64:65]
	v_pk_add_f32 v[64:65], v[66:67], v[28:29] neg_lo:[0,1] neg_hi:[0,1]
	v_mov_b32_e32 v49, v57
	v_mov_b32_e32 v31, v56
	;; [unrolled: 1-line block ×4, first 2 shown]
	v_pk_add_f32 v[68:69], v[38:39], v[36:37] neg_lo:[0,1] neg_hi:[0,1]
	v_pk_fma_f32 v[34:35], v[54:55], v[74:75], v[34:35]
	v_pk_add_f32 v[30:31], v[48:49], v[30:31]
	v_pk_add_f32 v[28:29], v[66:67], v[28:29]
	;; [unrolled: 1-line block ×3, first 2 shown]
	v_pk_add_f32 v[56:57], v[68:69], v[64:65] neg_lo:[0,1] neg_hi:[0,1]
	v_pk_add_f32 v[58:59], v[32:33], v[68:69] neg_lo:[0,1] neg_hi:[0,1]
	v_sub_f32_e32 v33, v64, v32
	v_mov_b32_e32 v48, v51
	v_pk_add_f32 v[64:65], v[34:35], v[50:51]
	v_pk_add_f32 v[50:51], v[34:35], v[50:51] neg_lo:[0,1] neg_hi:[0,1]
	v_mov_b32_e32 v34, v35
	v_mov_b32_e32 v35, v31
	;; [unrolled: 1-line block ×3, first 2 shown]
	v_pk_add_f32 v[66:67], v[28:29], v[30:31]
	v_pk_add_f32 v[34:35], v[34:35], v[48:49] neg_lo:[0,1] neg_hi:[0,1]
	v_mov_b32_e32 v37, v64
	v_mov_b32_e32 v39, v65
	v_pk_add_f32 v[48:49], v[64:65], v[66:67] neg_lo:[0,1] neg_hi:[0,1]
	v_pk_add_f32 v[36:37], v[36:37], v[38:39]
	v_mov_b32_e32 v48, v35
	v_pk_add_f32 v[68:69], v[28:29], v[30:31] neg_lo:[0,1] neg_hi:[0,1]
	v_mov_b32_e32 v31, v64
	v_pk_add_f32 v[70:71], v[36:37], v[28:29] neg_lo:[0,1] neg_hi:[0,1]
	v_pk_add_f32 v[28:29], v[48:49], v[50:51]
	v_mul_f32_e32 v41, 0x3f5ff5aa, v33
	v_sub_f32_e32 v53, v64, v65
	v_pk_add_f32 v[64:65], v[50:51], v[34:35] neg_lo:[0,1] neg_hi:[0,1]
	v_pk_add_f32 v[38:39], v[66:67], v[30:31] neg_lo:[0,1] neg_hi:[0,1]
	v_sub_f32_e32 v33, v34, v35
	v_sub_f32_e32 v55, v30, v36
	v_mov_b32_e32 v29, v54
	v_mov_b32_e32 v35, v32
	;; [unrolled: 1-line block ×3, first 2 shown]
	v_mul_f32_e32 v31, 0x3f3bfb3b, v53
	v_pk_add_f32 v[50:51], v[48:49], v[50:51] neg_lo:[0,1] neg_hi:[0,1]
	v_pk_add_f32 v[36:37], v[66:67], v[36:37]
	v_mul_f32_e32 v48, 0x3eae86e6, v33
	v_mul_f32_e32 v30, 0xbf4a47b2, v55
	v_pk_add_f32 v[32:33], v[28:29], v[34:35]
	v_pk_mul_f32 v[34:35], v[70:71], s[24:25]
	v_mov_b32_e32 v69, v39
	v_mov_b32_e32 v65, v56
	v_pk_add_f32 v[28:29], v[46:47], v[36:37]
	v_mov_b32_e32 v51, v58
	v_pk_mul_f32 v[46:47], v[64:65], s[20:21]
	v_pk_fma_f32 v[38:39], v[38:39], s[18:19], v[34:35]
	v_pk_fma_f32 v[56:57], v[68:69], s[18:19], v[34:35] neg_lo:[0,0,1] neg_hi:[0,0,1]
	v_pk_fma_f32 v[30:31], v[68:69], s[18:19], v[30:31] neg_lo:[1,0,0] neg_hi:[1,0,0]
	s_mov_b32 s18, 0xbf3bfb3b
	v_fmamk_f32 v54, v55, 0x3f4a47b2, v34
	v_mov_b32_e32 v57, v39
	v_fma_f32 v55, v53, s18, -v35
	v_pk_fma_f32 v[34:35], v[50:51], s[0:1], v[46:47]
	v_pk_fma_f32 v[38:39], v[50:51], s[0:1], v[46:47] neg_lo:[1,0,0] neg_hi:[1,0,0]
	v_xor_b32_e32 v59, 0x80000000, v41
	v_mov_b32_e32 v39, v35
	v_pk_add_f32 v[34:35], v[46:47], 0 neg_lo:[1,1] neg_hi:[1,1]
	v_mov_b32_e32 v49, v47
	v_mov_b32_e32 v35, v41
	v_pk_add_f32 v[34:35], v[34:35], v[48:49] neg_lo:[0,1] neg_hi:[0,1]
	v_mov_b32_e32 v49, v59
	v_pk_fma_f32 v[46:47], v[50:51], s[0:1], v[48:49] neg_lo:[1,0,0] neg_hi:[1,0,0]
	v_pk_fma_f32 v[48:49], v[50:51], s[0:1], v[48:49]
	s_mov_b32 s24, 0x3ee1c552
	v_pk_fma_f32 v[36:37], v[36:37], s[22:23], v[28:29] op_sel_hi:[1,0,1]
	v_mov_b32_e32 v49, v47
	v_pk_add_f32 v[56:57], v[56:57], v[36:37]
	v_pk_add_f32 v[30:31], v[30:31], v[36:37]
	v_pk_fma_f32 v[38:39], v[32:33], s[24:25], v[38:39] op_sel_hi:[1,0,1]
	v_pk_add_f32 v[50:51], v[54:55], v[36:37]
	v_pk_fma_f32 v[48:49], v[32:33], s[24:25], v[48:49] op_sel_hi:[1,0,1]
	v_pk_fma_f32 v[32:33], v[32:33], s[24:25], v[34:35] op_sel_hi:[1,0,1]
	v_pk_add_f32 v[46:47], v[56:57], v[38:39] neg_lo:[0,1] neg_hi:[0,1]
	v_pk_add_f32 v[34:35], v[32:33], v[30:31]
	v_pk_add_f32 v[36:37], v[30:31], v[32:33] neg_lo:[0,1] neg_hi:[0,1]
	v_pk_add_f32 v[30:31], v[48:49], v[50:51]
	;; [unrolled: 2-line block ×3, first 2 shown]
	s_and_saveexec_b64 s[0:1], s[8:9]
	s_cbranch_execz .LBB0_15
; %bb.14:
	v_mov_b32_e32 v32, v30
	v_mov_b32_e32 v33, v47
	ds_write2_b64 v40, v[28:29], v[32:33] offset1:105
	v_mov_b32_e32 v32, v34
	v_mov_b32_e32 v33, v51
	;; [unrolled: 1-line block ×4, first 2 shown]
	v_add_u32_e32 v41, 0x400, v40
	ds_write2_b64 v41, v[32:33], v[38:39] offset0:82 offset1:187
	v_mov_b32_e32 v32, v48
	v_mov_b32_e32 v33, v37
	;; [unrolled: 1-line block ×4, first 2 shown]
	v_add_u32_e32 v41, 0xc00, v40
	ds_write2_b64 v41, v[32:33], v[38:39] offset0:36 offset1:141
	v_mov_b32_e32 v32, v50
	v_mov_b32_e32 v33, v49
	ds_write_b64 v40, v[32:33] offset:5040
.LBB0_15:
	s_or_b64 exec, exec, s[0:1]
	s_waitcnt lgkmcnt(0)
	s_barrier
	s_and_saveexec_b64 s[0:1], s[8:9]
	s_cbranch_execz .LBB0_17
; %bb.16:
	v_mov_b32_e32 v41, 0
	v_lshl_add_u64 v[32:33], s[10:11], 0, v[40:41]
	v_add_co_u32_e32 v38, vcc, 0x1000, v32
	s_mov_b64 s[18:19], 0x16f8
	s_nop 0
	v_addc_co_u32_e32 v39, vcc, 0, v33, vcc
	global_load_dwordx2 v[38:39], v[38:39], off offset:1784
	s_movk_i32 s20, 0x2000
	v_lshl_add_u64 v[54:55], v[32:33], 0, s[18:19]
	v_add_co_u32_e32 v32, vcc, s20, v32
	global_load_dwordx2 v[58:59], v[54:55], off offset:840
	global_load_dwordx2 v[72:73], v[54:55], off offset:1680
	;; [unrolled: 1-line block ×4, first 2 shown]
	v_addc_co_u32_e32 v33, vcc, 0, v33, vcc
	global_load_dwordx2 v[78:79], v[32:33], off offset:1888
	global_load_dwordx2 v[80:81], v[32:33], off offset:2728
	ds_read_b64 v[32:33], v40
	v_add_u32_e32 v53, 0x1000, v40
	s_waitcnt vmcnt(6) lgkmcnt(0)
	v_mul_f32_e32 v41, v33, v39
	v_mul_f32_e32 v55, v32, v39
	v_fma_f32 v54, v32, v38, -v41
	v_fmac_f32_e32 v55, v33, v38
	ds_write_b64 v40, v[54:55]
	ds_read2_b64 v[54:57], v40 offset0:105 offset1:210
	v_add_u32_e32 v41, 0x800, v40
	ds_read2_b64 v[64:67], v41 offset0:59 offset1:164
	ds_read2_b64 v[68:71], v53 offset0:13 offset1:118
	s_waitcnt vmcnt(5) lgkmcnt(2)
	v_mul_f32_e32 v32, v55, v59
	v_mul_f32_e32 v33, v54, v59
	s_waitcnt vmcnt(4)
	v_mul_f32_e32 v38, v57, v73
	v_mul_f32_e32 v39, v56, v73
	s_waitcnt vmcnt(3) lgkmcnt(1)
	v_mul_f32_e32 v63, v65, v75
	v_mul_f32_e32 v59, v64, v75
	s_waitcnt vmcnt(2)
	v_mul_f32_e32 v82, v67, v77
	v_mul_f32_e32 v73, v66, v77
	;; [unrolled: 6-line block ×3, first 2 shown]
	v_fma_f32 v32, v54, v58, -v32
	v_fmac_f32_e32 v33, v55, v58
	v_fma_f32 v38, v56, v72, -v38
	v_fmac_f32_e32 v39, v57, v72
	;; [unrolled: 2-line block ×6, first 2 shown]
	ds_write2_b64 v40, v[32:33], v[38:39] offset0:105 offset1:210
	ds_write2_b64 v41, v[58:59], v[72:73] offset0:59 offset1:164
	;; [unrolled: 1-line block ×3, first 2 shown]
.LBB0_17:
	s_or_b64 exec, exec, s[0:1]
	s_waitcnt lgkmcnt(0)
	s_barrier
	s_and_saveexec_b64 s[0:1], s[4:5]
	s_xor_b64 s[0:1], exec, s[0:1]
	s_andn2_saveexec_b64 s[0:1], s[0:1]
	s_cbranch_execz .LBB0_19
; %bb.18:
	v_add_u32_e32 v32, 0x400, v40
	v_add_u32_e32 v36, 0xc00, v40
	ds_read2_b64 v[28:31], v40 offset1:105
	ds_read2_b64 v[32:35], v32 offset0:82 offset1:187
	ds_read2_b64 v[36:39], v36 offset0:36 offset1:141
	ds_read_b64 v[50:51], v40 offset:5040
	s_waitcnt lgkmcnt(3)
	v_mov_b32_e32 v47, v31
	s_waitcnt lgkmcnt(2)
	v_mov_b32_e32 v46, v34
	;; [unrolled: 2-line block ×4, first 2 shown]
	v_mov_b32_e32 v36, v38
	v_mov_b32_e32 v34, v32
	;; [unrolled: 1-line block ×4, first 2 shown]
.LBB0_19:
	s_or_b64 exec, exec, s[0:1]
	v_mov_b32_e32 v54, v47
	v_mov_b32_e32 v55, v30
	;; [unrolled: 1-line block ×4, first 2 shown]
	v_pk_add_f32 v[32:33], v[50:51], v[30:31]
	v_pk_add_f32 v[54:55], v[54:55], v[56:57] neg_lo:[0,1] neg_hi:[0,1]
	v_pk_add_f32 v[56:57], v[36:37], v[34:35]
	v_mov_b32_e32 v50, v51
	v_mov_b32_e32 v51, v34
	;; [unrolled: 1-line block ×8, first 2 shown]
	v_pk_add_f32 v[38:39], v[46:47], v[48:49]
	v_pk_add_f32 v[30:31], v[50:51], v[30:31] neg_lo:[0,1] neg_hi:[0,1]
	v_pk_add_f32 v[34:35], v[36:37], v[34:35] neg_lo:[0,1] neg_hi:[0,1]
	v_mov_b32_e32 v36, v56
	v_mov_b32_e32 v37, v33
	;; [unrolled: 1-line block ×4, first 2 shown]
	v_pk_add_f32 v[50:51], v[38:39], v[56:57] neg_lo:[0,1] neg_hi:[0,1]
	v_mov_b32_e32 v56, v32
	v_mov_b32_e32 v39, v33
	;; [unrolled: 1-line block ×6, first 2 shown]
	s_mov_b32 s4, 0x3d64c772
	s_mov_b32 s20, 0xbeae86e6
	v_pk_add_f32 v[48:49], v[36:37], v[46:47]
	v_pk_add_f32 v[32:33], v[56:57], v[38:39] neg_lo:[0,1] neg_hi:[0,1]
	v_pk_add_f32 v[58:59], v[34:35], v[30:31]
	v_pk_add_f32 v[64:65], v[64:65], v[66:67] neg_lo:[0,1] neg_hi:[0,1]
	v_mov_b32_e32 v66, v54
	v_mov_b32_e32 v35, v31
	;; [unrolled: 1-line block ×3, first 2 shown]
	s_mov_b32 s5, 0x3f4a47b2
	s_mov_b32 s21, 0x3f08b237
	v_pk_add_f32 v[34:35], v[66:67], v[34:35] neg_lo:[0,1] neg_hi:[0,1]
	v_pk_add_f32 v[38:39], v[38:39], v[48:49]
	s_mov_b32 s18, s5
	s_mov_b32 s19, s4
	;; [unrolled: 1-line block ×4, first 2 shown]
	v_pk_add_f32 v[48:49], v[58:59], v[54:55]
	v_pk_add_f32 v[28:29], v[28:29], v[38:39]
	s_mov_b32 s0, 0xbf955555
	v_pk_mul_f32 v[56:57], v[50:51], s[4:5]
	v_pk_mul_f32 v[32:33], v[32:33], s[18:19]
	;; [unrolled: 1-line block ×4, first 2 shown]
	v_pk_fma_f32 v[38:39], v[38:39], s[0:1], v[28:29] op_sel_hi:[1,0,1]
	v_pk_fma_f32 v[50:51], v[50:51], s[4:5], v[32:33]
	v_pk_add_f32 v[36:37], v[36:37], v[46:47] neg_lo:[0,1] neg_hi:[0,1]
	v_pk_add_f32 v[30:31], v[30:31], v[54:55] neg_lo:[0,1] neg_hi:[0,1]
	s_mov_b32 s0, 0x3f3bfb3b
	s_mov_b32 s4, 0xbf5ff5aa
	v_mov_b32_e32 v46, v56
	v_mov_b32_e32 v47, v33
	;; [unrolled: 1-line block ×4, first 2 shown]
	s_mov_b32 s18, 0xbee1c552
	v_pk_fma_f32 v[64:65], v[64:65], s[22:23], v[34:35]
	v_pk_fma_f32 v[46:47], v[36:37], s[0:1], v[46:47] op_sel_hi:[1,0,1] neg_lo:[0,0,1] neg_hi:[0,0,1]
	v_pk_fma_f32 v[54:55], v[30:31], s[4:5], v[54:55] op_sel_hi:[1,0,1] neg_lo:[0,0,1] neg_hi:[0,0,1]
	v_mov_b32_e32 v33, v57
	v_mov_b32_e32 v35, v59
	v_pk_add_f32 v[66:67], v[46:47], v[38:39]
	v_pk_fma_f32 v[54:55], v[48:49], s[18:19], v[54:55] op_sel_hi:[1,0,1]
	v_pk_fma_f32 v[32:33], v[36:37], s[0:1], v[32:33] op_sel_hi:[1,0,1] neg_lo:[1,0,1] neg_hi:[1,0,1]
	v_pk_fma_f32 v[34:35], v[30:31], s[4:5], v[34:35] op_sel_hi:[1,0,1] neg_lo:[1,0,1] neg_hi:[1,0,1]
	v_pk_add_f32 v[30:31], v[32:33], v[38:39]
	v_pk_fma_f32 v[46:47], v[48:49], s[18:19], v[34:35] op_sel_hi:[1,0,1]
	v_pk_add_f32 v[34:35], v[66:67], v[54:55] neg_lo:[0,1] neg_hi:[0,1]
	v_pk_add_f32 v[32:33], v[66:67], v[54:55]
	v_pk_add_f32 v[50:51], v[50:51], v[38:39]
	v_pk_fma_f32 v[64:65], v[48:49], s[18:19], v[64:65] op_sel_hi:[1,0,1]
	v_mov_b32_e32 v35, v33
	v_mov_b32_e32 v32, v67
	v_mov_b32_e32 v33, v30
	v_mov_b32_e32 v36, v55
	v_mov_b32_e32 v37, v46
	v_pk_add_f32 v[36:37], v[32:33], v[36:37] neg_lo:[0,1] neg_hi:[0,1]
	v_mov_b32_e32 v32, v47
	v_mov_b32_e32 v33, v54
	;; [unrolled: 1-line block ×4, first 2 shown]
	v_pk_add_f32 v[48:49], v[50:51], v[64:65]
	v_pk_add_f32 v[50:51], v[50:51], v[64:65] neg_lo:[0,1] neg_hi:[0,1]
	v_pk_add_f32 v[38:39], v[32:33], v[38:39]
	v_mov_b32_e32 v32, v50
	v_mov_b32_e32 v33, v49
	s_barrier
	s_and_saveexec_b64 s[0:1], s[8:9]
	s_cbranch_execz .LBB0_21
; %bb.20:
	v_pk_add_f32 v[54:55], v[30:31], v[46:47]
	v_pk_add_f32 v[30:31], v[30:31], v[46:47] neg_lo:[0,1] neg_hi:[0,1]
	v_lshlrev_b32_e32 v41, 3, v52
	v_mov_b32_e32 v49, v51
	ds_write2_b64 v41, v[28:29], v[48:49] offset1:1
	v_mov_b32_e32 v55, v31
	v_mov_b32_e32 v28, v39
	v_mov_b32_e32 v29, v36
	v_mov_b32_e32 v30, v37
	v_mov_b32_e32 v31, v38
	ds_write2_b64 v41, v[54:55], v[34:35] offset0:2 offset1:3
	ds_write2_b64 v41, v[28:29], v[30:31] offset0:4 offset1:5
	ds_write_b64 v41, v[32:33] offset:48
.LBB0_21:
	s_or_b64 exec, exec, s[0:1]
	s_waitcnt lgkmcnt(0)
	s_barrier
	ds_read2_b64 v[28:31], v40 offset1:245
	ds_read_b64 v[46:47], v40 offset:3920
	s_and_saveexec_b64 s[0:1], s[6:7]
	s_xor_b64 s[0:1], exec, s[0:1]
	s_or_saveexec_b64 s[0:1], s[0:1]
	v_mov_b32_e32 v58, v4
	v_mov_b32_e32 v59, v4
	;; [unrolled: 1-line block ×6, first 2 shown]
	s_xor_b64 exec, exec, s[0:1]
	s_cbranch_execz .LBB0_23
; %bb.22:
	v_add_u32_e32 v34, 0xc00, v40
	ds_read2_b64 v[48:51], v34 offset0:8 offset1:253
	ds_read_b64 v[34:35], v40 offset:1176
	s_waitcnt lgkmcnt(1)
	v_mov_b32_e32 v38, v51
	v_mov_b32_e32 v39, v48
	v_mov_b32_e32 v36, v49
	v_mov_b32_e32 v37, v50
.LBB0_23:
	s_or_b64 exec, exec, s[0:1]
	s_waitcnt lgkmcnt(0)
	v_pk_mul_f32 v[66:67], v[6:7], v[46:47]
	v_pk_mul_f32 v[6:7], v[0:1], v[36:37] op_sel_hi:[1,0]
	v_pk_mul_f32 v[64:65], v[4:5], v[30:31]
	v_pk_mul_f32 v[68:69], v[2:3], v[38:39] op_sel_hi:[1,0]
	v_pk_fma_f32 v[4:5], v[0:1], v[38:39], v[6:7] op_sel:[0,1,1] op_sel_hi:[1,1,0]
	v_pk_fma_f32 v[0:1], v[0:1], v[38:39], v[6:7] op_sel:[0,1,1] op_sel_hi:[1,1,0] neg_lo:[1,0,0] neg_hi:[1,0,0]
	v_pk_fma_f32 v[38:39], v[58:59], v[30:31], v[64:65] op_sel:[0,0,1] op_sel_hi:[1,1,0]
	v_mov_b32_e32 v5, v1
	v_pk_fma_f32 v[0:1], v[2:3], v[36:37], v[68:69] op_sel:[0,1,1] op_sel_hi:[1,1,0]
	v_pk_fma_f32 v[2:3], v[2:3], v[36:37], v[68:69] op_sel:[0,1,1] op_sel_hi:[1,1,0] neg_lo:[1,0,0] neg_hi:[1,0,0]
	v_pk_fma_f32 v[30:31], v[58:59], v[30:31], v[64:65] op_sel:[0,0,1] op_sel_hi:[1,1,0] neg_lo:[0,0,1] neg_hi:[0,0,1]
	v_mov_b32_e32 v1, v3
	v_mov_b32_e32 v39, v31
	v_pk_fma_f32 v[30:31], v[56:57], v[46:47], v[66:67] op_sel:[0,0,1] op_sel_hi:[1,1,0]
	v_pk_fma_f32 v[46:47], v[56:57], v[46:47], v[66:67] op_sel:[0,0,1] op_sel_hi:[1,1,0] neg_lo:[0,0,1] neg_hi:[0,0,1]
	v_pk_add_f32 v[2:3], v[0:1], v[4:5]
	v_mov_b32_e32 v31, v47
	v_pk_add_f32 v[46:47], v[28:29], v[38:39]
	v_pk_fma_f32 v[6:7], v[2:3], 0.5, v[34:35] op_sel_hi:[1,0,1] neg_lo:[1,0,0] neg_hi:[1,0,0]
	v_pk_add_f32 v[2:3], v[4:5], v[0:1] neg_lo:[0,1] neg_hi:[0,1]
	s_mov_b32 s0, 0x3f5db3d7
	v_pk_add_f32 v[46:47], v[46:47], v[30:31]
	v_pk_add_f32 v[56:57], v[38:39], v[30:31]
	v_pk_add_f32 v[30:31], v[38:39], v[30:31] neg_lo:[0,1] neg_hi:[0,1]
	v_pk_mul_f32 v[36:37], v[2:3], s[0:1] op_sel_hi:[1,0]
	v_pk_fma_f32 v[28:29], v[56:57], 0.5, v[28:29] op_sel_hi:[1,0,1] neg_lo:[1,0,0] neg_hi:[1,0,0]
	v_pk_mul_f32 v[30:31], v[30:31], s[0:1] op_sel_hi:[1,0]
	v_pk_add_f32 v[2:3], v[6:7], v[36:37] op_sel:[0,1] op_sel_hi:[1,0]
	v_pk_add_f32 v[36:37], v[6:7], v[36:37] op_sel:[0,1] op_sel_hi:[1,0] neg_lo:[0,1] neg_hi:[0,1]
	v_pk_add_f32 v[38:39], v[28:29], v[30:31] op_sel:[0,1] op_sel_hi:[1,0] neg_lo:[0,1] neg_hi:[0,1]
	v_pk_add_f32 v[28:29], v[28:29], v[30:31] op_sel:[0,1] op_sel_hi:[1,0]
	v_mov_b32_e32 v54, v12
	v_mov_b32_e32 v55, v12
	;; [unrolled: 1-line block ×17, first 2 shown]
	s_barrier
	ds_write2_b64 v60, v[46:47], v[30:31] offset1:7
	ds_write_b64 v60, v[28:29] offset:112
	s_and_saveexec_b64 s[0:1], s[2:3]
	s_cbranch_execz .LBB0_25
; %bb.24:
	v_pk_add_f32 v[4:5], v[34:35], v[4:5]
	v_lshlrev_b32_e32 v2, 3, v61
	v_pk_add_f32 v[0:1], v[0:1], v[4:5]
	v_mov_b32_e32 v37, v3
	ds_write2_b64 v2, v[0:1], v[36:37] offset1:7
	ds_write_b64 v2, v[6:7] offset:112
.LBB0_25:
	s_or_b64 exec, exec, s[0:1]
	v_add_u32_e32 v28, 0x400, v40
	s_waitcnt lgkmcnt(0)
	s_barrier
	ds_read2_b64 v[0:3], v28 offset0:19 offset1:166
	ds_read_b64 v[30:31], v40
	v_add_u32_e32 v29, 0xc00, v40
	ds_read2_b64 v[34:37], v29 offset0:57 offset1:204
	s_mov_b32 s0, 0x3f737871
	s_waitcnt lgkmcnt(2)
	v_pk_mul_f32 v[4:5], v[12:13], v[0:1]
	s_mov_b32 s2, 0x3f167918
	v_pk_fma_f32 v[12:13], v[54:55], v[0:1], v[4:5] op_sel:[0,0,1] op_sel_hi:[1,1,0]
	v_pk_fma_f32 v[0:1], v[54:55], v[0:1], v[4:5] op_sel:[0,0,1] op_sel_hi:[1,1,0] neg_lo:[0,0,1] neg_hi:[0,0,1]
	s_mov_b32 s4, 0x3e9e377a
	v_mov_b32_e32 v13, v1
	v_pk_mul_f32 v[0:1], v[14:15], v[2:3]
	s_waitcnt lgkmcnt(0)
	v_pk_fma_f32 v[14:15], v[52:53], v[2:3], v[0:1] op_sel:[0,0,1] op_sel_hi:[1,1,0]
	v_pk_fma_f32 v[0:1], v[52:53], v[2:3], v[0:1] op_sel:[0,0,1] op_sel_hi:[1,1,0] neg_lo:[0,0,1] neg_hi:[0,0,1]
	s_barrier
	v_mov_b32_e32 v15, v1
	v_pk_mul_f32 v[0:1], v[8:9], v[34:35]
	v_pk_add_f32 v[46:47], v[12:13], v[14:15] neg_lo:[0,1] neg_hi:[0,1]
	v_pk_fma_f32 v[8:9], v[50:51], v[34:35], v[0:1] op_sel:[0,0,1] op_sel_hi:[1,1,0]
	v_pk_fma_f32 v[0:1], v[50:51], v[34:35], v[0:1] op_sel:[0,0,1] op_sel_hi:[1,1,0] neg_lo:[0,0,1] neg_hi:[0,0,1]
	s_nop 0
	v_mov_b32_e32 v9, v1
	v_pk_mul_f32 v[0:1], v[10:11], v[36:37]
	v_pk_add_f32 v[2:3], v[14:15], v[8:9]
	v_pk_fma_f32 v[10:11], v[48:49], v[36:37], v[0:1] op_sel:[0,0,1] op_sel_hi:[1,1,0]
	v_pk_fma_f32 v[0:1], v[48:49], v[36:37], v[0:1] op_sel:[0,0,1] op_sel_hi:[1,1,0] neg_lo:[0,0,1] neg_hi:[0,0,1]
	v_pk_fma_f32 v[2:3], v[2:3], 0.5, v[30:31] op_sel_hi:[1,0,1] neg_lo:[1,0,0] neg_hi:[1,0,0]
	v_mov_b32_e32 v11, v1
	v_pk_add_f32 v[34:35], v[12:13], v[10:11] neg_lo:[0,1] neg_hi:[0,1]
	v_pk_add_f32 v[36:37], v[14:15], v[8:9] neg_lo:[0,1] neg_hi:[0,1]
	v_pk_mul_f32 v[4:5], v[34:35], s[0:1] op_sel_hi:[1,0]
	v_pk_add_f32 v[48:49], v[10:11], v[8:9] neg_lo:[0,1] neg_hi:[0,1]
	v_pk_mul_f32 v[38:39], v[36:37], s[2:3] op_sel_hi:[1,0]
	v_pk_add_f32 v[46:47], v[46:47], v[48:49]
	v_pk_add_f32 v[48:49], v[2:3], v[4:5] op_sel:[0,1] op_sel_hi:[1,0] neg_lo:[0,1] neg_hi:[0,1]
	v_pk_add_f32 v[2:3], v[2:3], v[4:5] op_sel:[0,1] op_sel_hi:[1,0]
	v_pk_add_f32 v[0:1], v[30:31], v[12:13]
	v_pk_add_f32 v[4:5], v[2:3], v[38:39] op_sel:[0,1] op_sel_hi:[1,0]
	v_pk_add_f32 v[38:39], v[48:49], v[38:39] op_sel:[0,1] op_sel_hi:[1,0] neg_lo:[0,1] neg_hi:[0,1]
	v_pk_add_f32 v[0:1], v[0:1], v[14:15]
	v_mov_b32_e32 v2, v38
	v_mov_b32_e32 v3, v5
	;; [unrolled: 1-line block ×3, first 2 shown]
	v_pk_add_f32 v[38:39], v[12:13], v[10:11]
	v_pk_add_f32 v[0:1], v[0:1], v[8:9]
	v_pk_fma_f32 v[30:31], v[38:39], 0.5, v[30:31] op_sel_hi:[1,0,1] neg_lo:[1,0,0] neg_hi:[1,0,0]
	v_pk_mul_f32 v[36:37], v[36:37], s[0:1] op_sel_hi:[1,0]
	v_pk_add_f32 v[12:13], v[14:15], v[12:13] neg_lo:[0,1] neg_hi:[0,1]
	v_pk_add_f32 v[8:9], v[8:9], v[10:11] neg_lo:[0,1] neg_hi:[0,1]
	v_pk_add_f32 v[0:1], v[0:1], v[10:11]
	v_pk_mul_f32 v[34:35], v[34:35], s[2:3] op_sel_hi:[1,0]
	v_pk_add_f32 v[10:11], v[12:13], v[8:9]
	v_pk_add_f32 v[8:9], v[30:31], v[36:37] op_sel:[0,1] op_sel_hi:[1,0]
	v_pk_add_f32 v[12:13], v[30:31], v[36:37] op_sel:[0,1] op_sel_hi:[1,0] neg_lo:[0,1] neg_hi:[0,1]
	v_pk_add_f32 v[14:15], v[8:9], v[34:35] op_sel:[0,1] op_sel_hi:[1,0] neg_lo:[0,1] neg_hi:[0,1]
	v_pk_add_f32 v[12:13], v[12:13], v[34:35] op_sel:[0,1] op_sel_hi:[1,0]
	v_mov_b32_e32 v8, v14
	v_mov_b32_e32 v9, v13
	v_mov_b32_e32 v13, v15
	v_pk_fma_f32 v[2:3], v[46:47], s[4:5], v[2:3] op_sel_hi:[1,0,1]
	v_pk_fma_f32 v[4:5], v[46:47], s[4:5], v[4:5] op_sel_hi:[1,0,1]
	;; [unrolled: 1-line block ×4, first 2 shown]
	ds_write2_b64 v62, v[0:1], v[2:3] offset1:21
	ds_write2_b64 v62, v[8:9], v[10:11] offset0:42 offset1:63
	ds_write_b64 v62, v[4:5] offset:672
	s_waitcnt lgkmcnt(0)
	s_barrier
	s_and_saveexec_b64 s[0:1], s[8:9]
	s_cbranch_execz .LBB0_27
; %bb.26:
	ds_read2_b64 v[0:3], v40 offset1:105
	ds_read2_b64 v[8:11], v28 offset0:82 offset1:187
	ds_read2_b64 v[4:7], v29 offset0:36 offset1:141
	ds_read_b64 v[32:33], v40 offset:5040
.LBB0_27:
	s_or_b64 exec, exec, s[0:1]
	s_and_saveexec_b64 s[0:1], s[8:9]
	s_cbranch_execz .LBB0_29
; %bb.28:
	v_mov_b32_e32 v12, v25
	v_mov_b32_e32 v13, v24
	s_waitcnt lgkmcnt(2)
	v_pk_mul_f32 v[46:47], v[12:13], v[10:11]
	v_mov_b32_e32 v34, v11
	v_mov_b32_e32 v46, v47
	v_pk_mul_f32 v[24:25], v[24:25], v[10:11]
	v_pk_mul_f32 v[34:35], v[12:13], v[34:35]
	v_pk_fma_f32 v[10:11], v[12:13], v[10:11], v[46:47] neg_lo:[1,0,0] neg_hi:[1,0,0]
	s_waitcnt lgkmcnt(1)
	v_pk_mul_f32 v[12:13], v[44:45], v[4:5]
	s_waitcnt lgkmcnt(0)
	v_pk_mul_f32 v[28:29], v[22:23], v[32:33] op_sel_hi:[1,0]
	v_mov_b32_e32 v30, v33
	v_mov_b32_e32 v12, v13
	v_pk_mul_f32 v[14:15], v[16:17], v[2:3] op_sel_hi:[1,0]
	v_pk_mul_f32 v[26:27], v[26:27], v[4:5]
	v_mov_b32_e32 v32, v5
	v_pk_fma_f32 v[4:5], v[44:45], v[4:5], v[12:13] neg_lo:[1,0,0] neg_hi:[1,0,0]
	v_pk_fma_f32 v[12:13], v[22:23], v[30:31], v[28:29] op_sel:[0,0,1] op_sel_hi:[1,0,0] neg_lo:[0,0,1] neg_hi:[0,0,1]
	v_pk_fma_f32 v[22:23], v[22:23], v[30:31], v[28:29] op_sel:[0,0,1] op_sel_hi:[1,0,0]
	v_pk_mul_f32 v[38:39], v[20:21], v[6:7] op_sel_hi:[1,0]
	v_mov_b32_e32 v6, v7
	v_mov_b32_e32 v13, v23
	v_pk_fma_f32 v[22:23], v[16:17], v[2:3], v[14:15] op_sel:[0,1,1] op_sel_hi:[1,1,0] neg_lo:[0,0,1] neg_hi:[0,0,1]
	v_pk_fma_f32 v[2:3], v[16:17], v[2:3], v[14:15] op_sel:[0,1,1] op_sel_hi:[1,1,0]
	v_pk_mul_f32 v[36:37], v[18:19], v[8:9] op_sel_hi:[1,0]
	v_mov_b32_e32 v23, v3
	v_pk_fma_f32 v[2:3], v[20:21], v[6:7], v[38:39] op_sel:[0,0,1] op_sel_hi:[1,0,0] neg_lo:[0,0,1] neg_hi:[0,0,1]
	v_pk_fma_f32 v[6:7], v[20:21], v[6:7], v[38:39] op_sel:[0,0,1] op_sel_hi:[1,0,0]
	v_pk_mul_f32 v[32:33], v[44:45], v[32:33]
	v_mov_b32_e32 v3, v7
	v_pk_fma_f32 v[6:7], v[18:19], v[8:9], v[36:37] op_sel:[0,1,1] op_sel_hi:[1,1,0] neg_lo:[0,0,1] neg_hi:[0,0,1]
	v_pk_fma_f32 v[8:9], v[18:19], v[8:9], v[36:37] op_sel:[0,1,1] op_sel_hi:[1,1,0]
	v_mov_b32_e32 v27, v12
	v_mov_b32_e32 v7, v9
	;; [unrolled: 1-line block ×5, first 2 shown]
	v_pk_add_f32 v[8:9], v[12:13], v[22:23]
	v_pk_add_f32 v[14:15], v[2:3], v[6:7]
	v_pk_add_f32 v[16:17], v[22:23], v[12:13] neg_lo:[0,1] neg_hi:[0,1]
	v_pk_add_f32 v[18:19], v[6:7], v[2:3] neg_lo:[0,1] neg_hi:[0,1]
	v_pk_add_f32 v[12:13], v[26:27], v[32:33]
	v_pk_add_f32 v[2:3], v[24:25], v[34:35]
	v_mov_b32_e32 v5, v12
	v_mov_b32_e32 v11, v2
	v_pk_add_f32 v[6:7], v[4:5], v[10:11] neg_lo:[0,1] neg_hi:[0,1]
	s_mov_b32 s2, 0xbeae86e6
	v_mov_b32_e32 v22, v6
	s_mov_b32 s3, 0x3f08b237
	v_pk_add_f32 v[24:25], v[6:7], v[18:19]
	v_mov_b32_e32 v26, v6
	v_mov_b32_e32 v27, v17
	;; [unrolled: 1-line block ×6, first 2 shown]
	v_pk_add_f32 v[6:7], v[26:27], v[6:7] neg_lo:[0,1] neg_hi:[0,1]
	s_mov_b32 s6, s3
	s_mov_b32 s7, s2
	v_mov_b32_e32 v26, v15
	v_mov_b32_e32 v27, v10
	;; [unrolled: 1-line block ×4, first 2 shown]
	v_pk_add_f32 v[20:21], v[20:21], v[22:23] neg_lo:[0,1] neg_hi:[0,1]
	v_pk_mul_f32 v[6:7], v[6:7], s[6:7]
	v_pk_add_f32 v[4:5], v[26:27], v[10:11]
	v_pk_add_f32 v[10:11], v[2:3], v[12:13]
	v_pk_mul_f32 v[22:23], v[20:21], s[2:3]
	v_pk_fma_f32 v[20:21], v[20:21], s[2:3], v[6:7]
	v_pk_add_f32 v[26:27], v[4:5], v[10:11]
	v_mov_b32_e32 v4, v9
	v_mov_b32_e32 v11, v3
	s_mov_b32 s2, 0x3f4a47b2
	v_pk_add_f32 v[28:29], v[4:5], v[10:11] neg_lo:[0,1] neg_hi:[0,1]
	s_mov_b32 s3, 0x3d64c772
	v_mov_b32_e32 v11, v13
	v_mov_b32_e32 v4, v15
	v_pk_add_f32 v[4:5], v[10:11], v[4:5] neg_lo:[0,1] neg_hi:[0,1]
	s_mov_b32 s6, s3
	s_mov_b32 s7, s2
	v_pk_mul_f32 v[4:5], v[4:5], s[6:7]
	v_pk_add_f32 v[0:1], v[0:1], v[26:27]
	v_pk_mul_f32 v[30:31], v[28:29], s[2:3]
	v_pk_fma_f32 v[10:11], v[28:29], s[2:3], v[4:5]
	s_mov_b32 s2, 0xbf955555
	v_pk_add_f32 v[24:25], v[24:25], v[16:17]
	s_mov_b32 s4, 0xbee1c552
	v_pk_fma_f32 v[26:27], v[26:27], s[2:3], v[0:1] op_sel_hi:[1,0,1]
	v_pk_fma_f32 v[20:21], v[24:25], s[4:5], v[20:21] op_sel_hi:[1,0,1]
	v_pk_add_f32 v[10:11], v[10:11], v[26:27]
	v_mov_b32_e32 v2, v15
	v_pk_add_f32 v[28:29], v[10:11], v[20:21]
	v_pk_add_f32 v[10:11], v[10:11], v[20:21] neg_lo:[0,1] neg_hi:[0,1]
	v_mov_b32_e32 v20, v28
	v_mov_b32_e32 v21, v11
	;; [unrolled: 1-line block ×3, first 2 shown]
	ds_write2_b64 v40, v[0:1], v[20:21] offset1:105
	v_pk_add_f32 v[0:1], v[18:19], v[16:17] neg_lo:[0,1] neg_hi:[0,1]
	s_mov_b32 s2, 0xbf5ff5aa
	v_mov_b32_e32 v16, v22
	v_mov_b32_e32 v17, v7
	v_pk_add_f32 v[2:3], v[2:3], v[12:13] neg_lo:[0,1] neg_hi:[0,1]
	s_mov_b32 s6, 0x3f3bfb3b
	v_mov_b32_e32 v8, v30
	v_mov_b32_e32 v9, v5
	;; [unrolled: 1-line block ×4, first 2 shown]
	v_pk_fma_f32 v[16:17], v[0:1], s[2:3], v[16:17] op_sel_hi:[1,0,1] neg_lo:[1,0,1] neg_hi:[1,0,1]
	v_pk_fma_f32 v[8:9], v[2:3], s[6:7], v[8:9] op_sel_hi:[1,0,1] neg_lo:[1,0,1] neg_hi:[1,0,1]
	;; [unrolled: 1-line block ×4, first 2 shown]
	v_pk_fma_f32 v[16:17], v[24:25], s[4:5], v[16:17] op_sel_hi:[1,0,1]
	v_pk_add_f32 v[8:9], v[8:9], v[26:27]
	v_pk_fma_f32 v[0:1], v[24:25], s[4:5], v[0:1] op_sel_hi:[1,0,1]
	v_pk_add_f32 v[2:3], v[2:3], v[26:27]
	v_pk_add_f32 v[12:13], v[8:9], v[16:17]
	v_pk_add_f32 v[8:9], v[8:9], v[16:17] neg_lo:[0,1] neg_hi:[0,1]
	v_pk_add_f32 v[4:5], v[2:3], v[0:1] neg_lo:[0,1] neg_hi:[0,1]
	v_pk_add_f32 v[0:1], v[2:3], v[0:1]
	v_mov_b32_e32 v14, v12
	v_mov_b32_e32 v15, v9
	;; [unrolled: 1-line block ×4, first 2 shown]
	v_add_u32_e32 v1, 0x400, v40
	ds_write2_b64 v1, v[14:15], v[2:3] offset0:82 offset1:187
	v_mov_b32_e32 v1, v5
	v_mov_b32_e32 v9, v13
	v_add_u32_e32 v2, 0xc00, v40
	v_mov_b32_e32 v11, v29
	ds_write2_b64 v2, v[0:1], v[8:9] offset0:36 offset1:141
	ds_write_b64 v40, v[10:11] offset:5040
.LBB0_29:
	s_or_b64 exec, exec, s[0:1]
	s_waitcnt lgkmcnt(0)
	s_barrier
	s_and_b64 exec, exec, s[8:9]
	s_cbranch_execz .LBB0_31
; %bb.30:
	global_load_dwordx2 v[8:9], v40, s[10:11]
	global_load_dwordx2 v[10:11], v40, s[10:11] offset:840
	global_load_dwordx2 v[12:13], v40, s[10:11] offset:1680
	;; [unrolled: 1-line block ×3, first 2 shown]
	ds_read_b64 v[16:17], v40
	global_load_dwordx2 v[22:23], v40, s[10:11] offset:3360
	v_mov_b32_e32 v41, 0
	v_mad_u64_u32 v[24:25], s[2:3], s12, v43, 0
	s_movk_i32 s2, 0x1000
	v_lshl_add_u64 v[4:5], s[10:11], 0, v[40:41]
	v_add_co_u32_e32 v30, vcc, s2, v4
	v_mad_u64_u32 v[20:21], s[0:1], s14, v42, 0
	s_nop 0
	v_addc_co_u32_e32 v31, vcc, 0, v5, vcc
	global_load_dwordx2 v[32:33], v[30:31], off offset:104
	v_mov_b32_e32 v26, v21
	v_mad_u64_u32 v[26:27], s[2:3], s15, v42, v[26:27]
	v_mov_b32_e32 v21, v26
	global_load_dwordx2 v[26:27], v[30:31], off offset:944
	ds_read2_b64 v[0:3], v40 offset0:105 offset1:210
	v_add_u32_e32 v6, 0x800, v40
	ds_read2_b64 v[4:7], v6 offset0:59 offset1:164
	v_mov_b32_e32 v28, v25
	v_mov_b32_e32 v18, s16
	;; [unrolled: 1-line block ×3, first 2 shown]
	v_mad_u64_u32 v[28:29], s[2:3], s13, v43, v[28:29]
	v_mov_b32_e32 v25, v28
	v_lshl_add_u64 v[18:19], v[20:21], 3, v[18:19]
	s_mov_b32 s0, 0x3adcd25f
	v_mov_b32_e32 v34, 0x348
	v_lshl_add_u64 v[18:19], v[24:25], 3, v[18:19]
	s_mov_b32 s1, 0x3f564a89
	s_mul_i32 s4, s13, 0x348
	v_mad_u64_u32 v[20:21], s[2:3], s12, v34, v[18:19]
	v_add_u32_e32 v21, s4, v21
	v_mad_u64_u32 v[24:25], s[2:3], s12, v34, v[20:21]
	v_add_u32_e32 v25, s4, v25
	s_waitcnt vmcnt(6) lgkmcnt(2)
	v_mul_f32_e32 v28, v17, v9
	v_mul_f32_e32 v9, v16, v9
	s_waitcnt vmcnt(5) lgkmcnt(1)
	v_mul_f32_e32 v29, v1, v11
	v_mul_f32_e32 v11, v0, v11
	s_waitcnt vmcnt(4)
	v_mul_f32_e32 v30, v3, v13
	v_mul_f32_e32 v13, v2, v13
	v_fmac_f32_e32 v28, v16, v8
	v_fma_f32 v8, v8, v17, -v9
	s_waitcnt vmcnt(3) lgkmcnt(0)
	v_mul_f32_e32 v31, v5, v15
	v_mul_f32_e32 v15, v4, v15
	v_fmac_f32_e32 v29, v0, v10
	v_fma_f32 v9, v10, v1, -v11
	v_fmac_f32_e32 v30, v2, v12
	v_fma_f32 v12, v12, v3, -v13
	v_cvt_f64_f32_e32 v[0:1], v28
	v_cvt_f64_f32_e32 v[2:3], v8
	v_fmac_f32_e32 v31, v4, v14
	v_fma_f32 v16, v14, v5, -v15
	v_cvt_f64_f32_e32 v[4:5], v29
	v_cvt_f64_f32_e32 v[8:9], v9
	;; [unrolled: 1-line block ×4, first 2 shown]
	v_mul_f64 v[0:1], v[0:1], s[0:1]
	v_mul_f64 v[2:3], v[2:3], s[0:1]
	;; [unrolled: 1-line block ×6, first 2 shown]
	v_cvt_f32_f64_e32 v0, v[0:1]
	v_cvt_f32_f64_e32 v1, v[2:3]
	;; [unrolled: 1-line block ×6, first 2 shown]
	global_store_dwordx2 v[18:19], v[0:1], off
	global_store_dwordx2 v[20:21], v[2:3], off
	;; [unrolled: 1-line block ×3, first 2 shown]
	s_waitcnt vmcnt(5)
	v_mul_f32_e32 v0, v7, v23
	v_cvt_f64_f32_e32 v[14:15], v31
	v_cvt_f64_f32_e32 v[16:17], v16
	v_fmac_f32_e32 v0, v6, v22
	v_mul_f64 v[14:15], v[14:15], s[0:1]
	v_mul_f64 v[16:17], v[16:17], s[0:1]
	v_mad_u64_u32 v[4:5], s[2:3], s12, v34, v[24:25]
	v_cvt_f64_f32_e32 v[0:1], v0
	v_cvt_f32_f64_e32 v8, v[14:15]
	v_cvt_f32_f64_e32 v9, v[16:17]
	v_add_u32_e32 v5, s4, v5
	v_mul_f64 v[0:1], v[0:1], s[0:1]
	global_store_dwordx2 v[4:5], v[8:9], off
	v_cvt_f32_f64_e32 v8, v[0:1]
	v_mul_f32_e32 v0, v6, v23
	v_fma_f32 v0, v22, v7, -v0
	v_cvt_f64_f32_e32 v[0:1], v0
	v_mul_f64 v[0:1], v[0:1], s[0:1]
	v_cvt_f32_f64_e32 v9, v[0:1]
	v_add_u32_e32 v0, 0x1000, v40
	ds_read2_b64 v[0:3], v0 offset0:13 offset1:118
	v_mad_u64_u32 v[4:5], s[2:3], s12, v34, v[4:5]
	v_add_u32_e32 v5, s4, v5
	global_store_dwordx2 v[4:5], v[8:9], off
	s_waitcnt vmcnt(6) lgkmcnt(0)
	v_mul_f32_e32 v6, v1, v33
	v_fmac_f32_e32 v6, v0, v32
	v_mul_f32_e32 v0, v0, v33
	v_fma_f32 v0, v32, v1, -v0
	v_cvt_f64_f32_e32 v[6:7], v6
	v_cvt_f64_f32_e32 v[0:1], v0
	v_mul_f64 v[6:7], v[6:7], s[0:1]
	v_mul_f64 v[0:1], v[0:1], s[0:1]
	v_cvt_f32_f64_e32 v6, v[6:7]
	v_cvt_f32_f64_e32 v7, v[0:1]
	v_mad_u64_u32 v[0:1], s[2:3], s12, v34, v[4:5]
	s_waitcnt vmcnt(5)
	v_mul_f32_e32 v4, v3, v27
	v_fmac_f32_e32 v4, v2, v26
	v_mul_f32_e32 v2, v2, v27
	v_fma_f32 v2, v26, v3, -v2
	v_add_u32_e32 v1, s4, v1
	v_cvt_f64_f32_e32 v[4:5], v4
	v_cvt_f64_f32_e32 v[2:3], v2
	global_store_dwordx2 v[0:1], v[6:7], off
	v_mul_f64 v[4:5], v[4:5], s[0:1]
	v_mul_f64 v[2:3], v[2:3], s[0:1]
	v_mad_u64_u32 v[0:1], s[0:1], s12, v34, v[0:1]
	v_cvt_f32_f64_e32 v4, v[4:5]
	v_cvt_f32_f64_e32 v5, v[2:3]
	v_add_u32_e32 v1, s4, v1
	global_store_dwordx2 v[0:1], v[4:5], off
.LBB0_31:
	s_endpgm
	.section	.rodata,"a",@progbits
	.p2align	6, 0x0
	.amdhsa_kernel bluestein_single_fwd_len735_dim1_sp_op_CI_CI
		.amdhsa_group_segment_fixed_size 5880
		.amdhsa_private_segment_fixed_size 0
		.amdhsa_kernarg_size 104
		.amdhsa_user_sgpr_count 2
		.amdhsa_user_sgpr_dispatch_ptr 0
		.amdhsa_user_sgpr_queue_ptr 0
		.amdhsa_user_sgpr_kernarg_segment_ptr 1
		.amdhsa_user_sgpr_dispatch_id 0
		.amdhsa_user_sgpr_kernarg_preload_length 0
		.amdhsa_user_sgpr_kernarg_preload_offset 0
		.amdhsa_user_sgpr_private_segment_size 0
		.amdhsa_uses_dynamic_stack 0
		.amdhsa_enable_private_segment 0
		.amdhsa_system_sgpr_workgroup_id_x 1
		.amdhsa_system_sgpr_workgroup_id_y 0
		.amdhsa_system_sgpr_workgroup_id_z 0
		.amdhsa_system_sgpr_workgroup_info 0
		.amdhsa_system_vgpr_workitem_id 0
		.amdhsa_next_free_vgpr 84
		.amdhsa_next_free_sgpr 26
		.amdhsa_accum_offset 84
		.amdhsa_reserve_vcc 1
		.amdhsa_float_round_mode_32 0
		.amdhsa_float_round_mode_16_64 0
		.amdhsa_float_denorm_mode_32 3
		.amdhsa_float_denorm_mode_16_64 3
		.amdhsa_dx10_clamp 1
		.amdhsa_ieee_mode 1
		.amdhsa_fp16_overflow 0
		.amdhsa_tg_split 0
		.amdhsa_exception_fp_ieee_invalid_op 0
		.amdhsa_exception_fp_denorm_src 0
		.amdhsa_exception_fp_ieee_div_zero 0
		.amdhsa_exception_fp_ieee_overflow 0
		.amdhsa_exception_fp_ieee_underflow 0
		.amdhsa_exception_fp_ieee_inexact 0
		.amdhsa_exception_int_div_zero 0
	.end_amdhsa_kernel
	.text
.Lfunc_end0:
	.size	bluestein_single_fwd_len735_dim1_sp_op_CI_CI, .Lfunc_end0-bluestein_single_fwd_len735_dim1_sp_op_CI_CI
                                        ; -- End function
	.section	.AMDGPU.csdata,"",@progbits
; Kernel info:
; codeLenInByte = 7460
; NumSgprs: 32
; NumVgprs: 84
; NumAgprs: 0
; TotalNumVgprs: 84
; ScratchSize: 0
; MemoryBound: 0
; FloatMode: 240
; IeeeMode: 1
; LDSByteSize: 5880 bytes/workgroup (compile time only)
; SGPRBlocks: 3
; VGPRBlocks: 10
; NumSGPRsForWavesPerEU: 32
; NumVGPRsForWavesPerEU: 84
; AccumOffset: 84
; Occupancy: 5
; WaveLimiterHint : 1
; COMPUTE_PGM_RSRC2:SCRATCH_EN: 0
; COMPUTE_PGM_RSRC2:USER_SGPR: 2
; COMPUTE_PGM_RSRC2:TRAP_HANDLER: 0
; COMPUTE_PGM_RSRC2:TGID_X_EN: 1
; COMPUTE_PGM_RSRC2:TGID_Y_EN: 0
; COMPUTE_PGM_RSRC2:TGID_Z_EN: 0
; COMPUTE_PGM_RSRC2:TIDIG_COMP_CNT: 0
; COMPUTE_PGM_RSRC3_GFX90A:ACCUM_OFFSET: 20
; COMPUTE_PGM_RSRC3_GFX90A:TG_SPLIT: 0
	.text
	.p2alignl 6, 3212836864
	.fill 256, 4, 3212836864
	.type	__hip_cuid_51aac9fa4386d47a,@object ; @__hip_cuid_51aac9fa4386d47a
	.section	.bss,"aw",@nobits
	.globl	__hip_cuid_51aac9fa4386d47a
__hip_cuid_51aac9fa4386d47a:
	.byte	0                               ; 0x0
	.size	__hip_cuid_51aac9fa4386d47a, 1

	.ident	"AMD clang version 19.0.0git (https://github.com/RadeonOpenCompute/llvm-project roc-6.4.0 25133 c7fe45cf4b819c5991fe208aaa96edf142730f1d)"
	.section	".note.GNU-stack","",@progbits
	.addrsig
	.addrsig_sym __hip_cuid_51aac9fa4386d47a
	.amdgpu_metadata
---
amdhsa.kernels:
  - .agpr_count:     0
    .args:
      - .actual_access:  read_only
        .address_space:  global
        .offset:         0
        .size:           8
        .value_kind:     global_buffer
      - .actual_access:  read_only
        .address_space:  global
        .offset:         8
        .size:           8
        .value_kind:     global_buffer
      - .actual_access:  read_only
        .address_space:  global
        .offset:         16
        .size:           8
        .value_kind:     global_buffer
      - .actual_access:  read_only
        .address_space:  global
        .offset:         24
        .size:           8
        .value_kind:     global_buffer
      - .actual_access:  read_only
        .address_space:  global
        .offset:         32
        .size:           8
        .value_kind:     global_buffer
      - .offset:         40
        .size:           8
        .value_kind:     by_value
      - .address_space:  global
        .offset:         48
        .size:           8
        .value_kind:     global_buffer
      - .address_space:  global
        .offset:         56
        .size:           8
        .value_kind:     global_buffer
      - .address_space:  global
        .offset:         64
        .size:           8
        .value_kind:     global_buffer
      - .address_space:  global
        .offset:         72
        .size:           8
        .value_kind:     global_buffer
      - .offset:         80
        .size:           4
        .value_kind:     by_value
      - .address_space:  global
        .offset:         88
        .size:           8
        .value_kind:     global_buffer
      - .address_space:  global
        .offset:         96
        .size:           8
        .value_kind:     global_buffer
    .group_segment_fixed_size: 5880
    .kernarg_segment_align: 8
    .kernarg_segment_size: 104
    .language:       OpenCL C
    .language_version:
      - 2
      - 0
    .max_flat_workgroup_size: 147
    .name:           bluestein_single_fwd_len735_dim1_sp_op_CI_CI
    .private_segment_fixed_size: 0
    .sgpr_count:     32
    .sgpr_spill_count: 0
    .symbol:         bluestein_single_fwd_len735_dim1_sp_op_CI_CI.kd
    .uniform_work_group_size: 1
    .uses_dynamic_stack: false
    .vgpr_count:     84
    .vgpr_spill_count: 0
    .wavefront_size: 64
amdhsa.target:   amdgcn-amd-amdhsa--gfx950
amdhsa.version:
  - 1
  - 2
...

	.end_amdgpu_metadata
